;; amdgpu-corpus repo=ROCm/rocFFT kind=compiled arch=gfx950 opt=O3
	.text
	.amdgcn_target "amdgcn-amd-amdhsa--gfx950"
	.amdhsa_code_object_version 6
	.protected	bluestein_single_back_len10_dim1_sp_op_CI_CI ; -- Begin function bluestein_single_back_len10_dim1_sp_op_CI_CI
	.globl	bluestein_single_back_len10_dim1_sp_op_CI_CI
	.p2align	8
	.type	bluestein_single_back_len10_dim1_sp_op_CI_CI,@function
bluestein_single_back_len10_dim1_sp_op_CI_CI: ; @bluestein_single_back_len10_dim1_sp_op_CI_CI
; %bb.0:
	s_load_dwordx4 s[8:11], s[0:1], 0x28
	v_lshl_or_b32 v2, s2, 6, v0
	v_mov_b32_e32 v3, 0
	s_waitcnt lgkmcnt(0)
	v_cmp_gt_u64_e32 vcc, s[8:9], v[2:3]
	s_and_saveexec_b64 s[2:3], vcc
	s_cbranch_execz .LBB0_2
; %bb.1:
	s_load_dwordx4 s[20:23], s[0:1], 0x18
	v_mov_b32_e32 v4, s10
	v_mov_b32_e32 v5, s11
	;; [unrolled: 1-line block ×3, first 2 shown]
	v_mul_u32_u24_e32 v0, 10, v0
	s_waitcnt lgkmcnt(0)
	s_load_dwordx4 s[4:7], s[20:21], 0x0
	s_mov_b32 s52, 0x3f4f1bbd
	s_load_dwordx2 s[20:21], s[0:1], 0x0
	s_waitcnt lgkmcnt(0)
	v_mad_u64_u32 v[6:7], s[2:3], s6, v2, 0
	v_mov_b32_e32 v8, v7
	v_mad_u64_u32 v[8:9], s[2:3], s7, v2, v[8:9]
	v_mov_b32_e32 v7, v8
	v_lshl_add_u64 v[4:5], v[6:7], 3, v[4:5]
	s_lshl_b64 s[2:3], s[4:5], 5
	v_lshl_add_u64 v[8:9], s[4:5], 3, v[4:5]
	v_lshl_add_u64 v[12:13], v[4:5], 0, s[2:3]
	v_mad_u64_u32 v[14:15], s[2:3], s4, 24, v[4:5]
	v_mad_u64_u32 v[16:17], s[2:3], s4, 40, v[4:5]
	global_load_dwordx2 v[6:7], v[4:5], off
	v_mov_b32_e32 v18, v15
	global_load_dwordx2 v[8:9], v[8:9], off
	v_mov_b32_e32 v20, v17
	v_mad_u64_u32 v[18:19], s[2:3], s5, 24, v[18:19]
	v_mad_u64_u32 v[20:21], s[2:3], s5, 40, v[20:21]
	v_lshl_add_u64 v[10:11], s[4:5], 4, v[4:5]
	global_load_dwordx2 v[10:11], v[10:11], off
	v_mov_b32_e32 v15, v18
	global_load_dwordx2 v[12:13], v[12:13], off
	v_mov_b32_e32 v17, v20
	global_load_dwordx2 v[14:15], v[14:15], off
	v_mad_u64_u32 v[18:19], s[2:3], s4, 48, v[4:5]
	global_load_dwordx2 v[16:17], v[16:17], off
	v_mad_u64_u32 v[20:21], s[2:3], s4, 56, v[4:5]
	v_mov_b32_e32 v22, v19
	v_mov_b32_e32 v24, v21
	v_mad_u64_u32 v[22:23], s[2:3], s5, 48, v[22:23]
	v_mad_u64_u32 v[24:25], s[2:3], s5, 56, v[24:25]
	v_mov_b32_e32 v19, v22
	v_mov_b32_e32 v21, v24
	global_load_dwordx2 v[22:23], v[18:19], off
	global_load_dwordx2 v[24:25], v[20:21], off
	s_lshl_b64 s[2:3], s[4:5], 6
	s_mulk_i32 s5, 0x48
	v_lshl_add_u64 v[18:19], v[4:5], 0, s[2:3]
	v_mad_u64_u32 v[4:5], s[2:3], s4, v3, v[4:5]
	v_add_u32_e32 v5, s5, v5
	global_load_dwordx2 v[20:21], v[4:5], off
	global_load_dwordx2 v[26:27], v[18:19], off
	s_load_dwordx16 s[4:19], s[20:21], 0x0
	v_lshlrev_b32_e32 v4, 3, v0
	s_load_dwordx4 s[28:31], s[22:23], 0x0
	s_load_dwordx16 s[36:51], s[20:21], 0x40
	s_waitcnt lgkmcnt(0)
	s_mov_b32 s2, s7
	s_mov_b32 s22, s11
	;; [unrolled: 1-line block ×5, first 2 shown]
	s_load_dwordx2 s[0:1], s[0:1], 0x38
	s_waitcnt vmcnt(9)
	v_pk_mul_f32 v[0:1], v[6:7], s[4:5] op_sel_hi:[1,0]
	v_pk_mul_f32 v[6:7], v[6:7], s[4:5] op_sel:[0,1]
	s_waitcnt vmcnt(8)
	v_pk_mul_f32 v[18:19], v[8:9], s[6:7] op_sel_hi:[1,0]
	v_pk_mul_f32 v[8:9], v[8:9], s[2:3] op_sel_hi:[1,0]
	v_mov_b32_e32 v28, v7
	v_sub_f32_e32 v7, v1, v6
	v_mov_b32_e32 v29, v9
	v_mov_b32_e32 v1, v18
	v_pk_add_f32 v[0:1], v[0:1], v[28:29]
	v_sub_f32_e32 v9, v19, v8
	v_mov_b32_e32 v6, v0
	s_waitcnt vmcnt(6)
	v_pk_mul_f32 v[32:33], v[12:13], s[12:13] op_sel_hi:[1,0]
	v_pk_mul_f32 v[34:35], v[12:13], s[34:35] op_sel_hi:[1,0]
	v_mov_b32_e32 v8, v1
	s_waitcnt vmcnt(5)
	v_pk_mul_f32 v[0:1], v[14:15], s[10:11] op_sel_hi:[1,0]
	v_pk_mul_f32 v[12:13], v[14:15], s[22:23] op_sel_hi:[1,0]
	s_waitcnt vmcnt(4)
	v_pk_mul_f32 v[14:15], v[16:17], s[14:15] op_sel_hi:[1,0]
	v_pk_mul_f32 v[16:17], v[16:17], s[26:27] op_sel_hi:[1,0]
	;; [unrolled: 1-line block ×4, first 2 shown]
	v_mov_b32_e32 v36, v35
	v_mov_b32_e32 v38, v32
	;; [unrolled: 1-line block ×5, first 2 shown]
	v_sub_f32_e32 v11, v31, v10
	ds_write_b128 v4, v[6:9]
	v_mov_b32_e32 v19, v13
	v_mov_b32_e32 v31, v0
	v_sub_f32_e32 v9, v15, v16
	v_pk_add_f32 v[14:15], v[38:39], v[36:37]
	v_sub_f32_e32 v13, v1, v12
	v_pk_add_f32 v[0:1], v[30:31], v[18:19]
	v_sub_f32_e32 v7, v33, v34
	v_mov_b32_e32 v6, v14
	v_mov_b32_e32 v8, v15
	s_mov_b32 s2, s17
	v_mov_b32_e32 v10, v0
	v_mov_b32_e32 v12, v1
	ds_write_b128 v4, v[6:9] offset:32
	s_waitcnt vmcnt(3)
	v_pk_mul_f32 v[8:9], v[22:23], s[2:3] op_sel_hi:[1,0]
	s_mov_b32 s2, s19
	ds_write_b128 v4, v[10:13] offset:16
	v_pk_mul_f32 v[0:1], v[22:23], s[16:17] op_sel_hi:[1,0]
	s_waitcnt vmcnt(2)
	v_pk_mul_f32 v[6:7], v[24:25], s[18:19] op_sel_hi:[1,0]
	v_pk_mul_f32 v[10:11], v[24:25], s[2:3] op_sel_hi:[1,0]
	v_mov_b32_e32 v12, v9
	v_mov_b32_e32 v13, v11
	;; [unrolled: 1-line block ×4, first 2 shown]
	v_pk_add_f32 v[12:13], v[14:15], v[12:13]
	v_sub_f32_e32 v9, v7, v10
	v_sub_f32_e32 v7, v1, v8
	v_mov_b32_e32 v6, v12
	v_mov_b32_e32 v8, v13
	s_mov_b32 s2, s39
	ds_write_b128 v4, v[6:9] offset:48
	s_waitcnt vmcnt(1)
	v_pk_mul_f32 v[0:1], v[20:21], s[38:39] op_sel_hi:[1,0]
	s_waitcnt vmcnt(0)
	v_pk_mul_f32 v[6:7], v[26:27], s[36:37] op_sel_hi:[1,0]
	v_pk_mul_f32 v[8:9], v[20:21], s[2:3] op_sel_hi:[1,0]
	v_pk_mul_f32 v[10:11], v[26:27], s[36:37] op_sel:[0,1]
	v_mov_b32_e32 v13, v9
	v_mov_b32_e32 v12, v11
	;; [unrolled: 1-line block ×4, first 2 shown]
	v_pk_add_f32 v[12:13], v[14:15], v[12:13]
	v_sub_f32_e32 v9, v1, v8
	v_sub_f32_e32 v7, v7, v10
	v_mov_b32_e32 v6, v12
	v_mov_b32_e32 v8, v13
	ds_write_b128 v4, v[6:9] offset:64
	s_waitcnt lgkmcnt(0)
	; wave barrier
	s_waitcnt lgkmcnt(0)
	ds_read_b128 v[6:9], v4
	ds_read_b128 v[10:13], v4 offset:16
	ds_read_b128 v[14:17], v4 offset:32
	;; [unrolled: 1-line block ×4, first 2 shown]
	v_mad_u64_u32 v[0:1], s[2:3], s30, v2, 0
	s_waitcnt lgkmcnt(3)
	v_pk_add_f32 v[26:27], v[6:7], v[10:11]
	s_mov_b32 s34, 0x3f737871
	s_waitcnt lgkmcnt(2)
	v_pk_add_f32 v[26:27], v[26:27], v[14:15]
	s_waitcnt lgkmcnt(0)
	v_pk_add_f32 v[28:29], v[10:11], v[22:23] neg_lo:[0,1] neg_hi:[0,1]
	v_pk_add_f32 v[26:27], v[26:27], v[18:19]
	v_pk_mul_f32 v[34:35], v[28:29], s[34:35] op_sel_hi:[1,0]
	v_pk_add_f32 v[30:31], v[26:27], v[22:23]
	v_pk_add_f32 v[26:27], v[8:9], v[12:13]
	v_pk_add_f32 v[36:37], v[14:15], v[18:19] neg_lo:[0,1] neg_hi:[0,1]
	v_pk_add_f32 v[26:27], v[26:27], v[16:17]
	s_mov_b32 s2, 0x3f167918
	v_pk_add_f32 v[26:27], v[26:27], v[20:21]
	v_pk_add_f32 v[40:41], v[10:11], v[14:15] neg_lo:[0,1] neg_hi:[0,1]
	v_pk_add_f32 v[32:33], v[26:27], v[24:25]
	v_pk_add_f32 v[26:27], v[14:15], v[18:19]
	v_pk_add_f32 v[42:43], v[22:23], v[18:19] neg_lo:[0,1] neg_hi:[0,1]
	v_pk_fma_f32 v[26:27], v[26:27], 0.5, v[6:7] op_sel_hi:[1,0,1] neg_lo:[1,0,0] neg_hi:[1,0,0]
	v_pk_mul_f32 v[38:39], v[36:37], s[2:3] op_sel_hi:[1,0]
	v_pk_add_f32 v[40:41], v[40:41], v[42:43]
	v_pk_add_f32 v[42:43], v[26:27], v[34:35] op_sel:[0,1] op_sel_hi:[1,0]
	v_pk_add_f32 v[26:27], v[26:27], v[34:35] op_sel:[0,1] op_sel_hi:[1,0] neg_lo:[0,1] neg_hi:[0,1]
	v_pk_add_f32 v[44:45], v[16:17], v[12:13] neg_lo:[0,1] neg_hi:[0,1]
	v_pk_add_f32 v[34:35], v[26:27], v[38:39] op_sel:[0,1] op_sel_hi:[1,0] neg_lo:[0,1] neg_hi:[0,1]
	v_pk_add_f32 v[26:27], v[10:11], v[22:23]
	v_pk_add_f32 v[10:11], v[14:15], v[10:11] neg_lo:[0,1] neg_hi:[0,1]
	v_pk_add_f32 v[14:15], v[18:19], v[22:23] neg_lo:[0,1] neg_hi:[0,1]
	;; [unrolled: 1-line block ×3, first 2 shown]
	v_pk_add_f32 v[22:23], v[12:13], v[24:25]
	v_pk_fma_f32 v[6:7], v[26:27], 0.5, v[6:7] op_sel_hi:[1,0,1] neg_lo:[1,0,0] neg_hi:[1,0,0]
	v_pk_add_f32 v[10:11], v[10:11], v[14:15]
	v_pk_add_f32 v[14:15], v[12:13], v[24:25] neg_lo:[0,1] neg_hi:[0,1]
	v_pk_fma_f32 v[22:23], v[22:23], 0.5, v[8:9] op_sel_hi:[1,0,1] neg_lo:[1,0,0] neg_hi:[1,0,0]
	v_pk_mul_f32 v[26:27], v[18:19], s[34:35] op_sel_hi:[1,0]
	v_pk_add_f32 v[46:47], v[20:21], v[24:25] neg_lo:[0,1] neg_hi:[0,1]
	v_pk_add_f32 v[38:39], v[42:43], v[38:39] op_sel:[0,1] op_sel_hi:[1,0]
	v_pk_mul_f32 v[42:43], v[14:15], s[2:3] op_sel_hi:[1,0]
	v_pk_add_f32 v[44:45], v[44:45], v[46:47]
	v_pk_add_f32 v[46:47], v[22:23], v[26:27] op_sel:[0,1] op_sel_hi:[1,0] neg_lo:[0,1] neg_hi:[0,1]
	v_pk_add_f32 v[22:23], v[22:23], v[26:27] op_sel:[0,1] op_sel_hi:[1,0]
	v_pk_add_f32 v[26:27], v[46:47], v[42:43] op_sel:[0,1] op_sel_hi:[1,0]
	v_pk_add_f32 v[22:23], v[22:23], v[42:43] op_sel:[0,1] op_sel_hi:[1,0] neg_lo:[0,1] neg_hi:[0,1]
	s_mov_b32 s30, 0x3e9e377a
	v_mov_b32_e32 v42, v26
	v_mov_b32_e32 v43, v23
	v_pk_fma_f32 v[42:43], v[44:45], s[30:31], v[42:43] op_sel_hi:[1,0,1]
	v_pk_mul_f32 v[36:37], v[36:37], s[34:35] op_sel_hi:[1,0]
	v_pk_mul_f32 v[46:47], v[42:43], s[34:35] op_sel_hi:[1,0]
	v_pk_mul_f32 v[28:29], v[28:29], s[2:3] op_sel_hi:[1,0]
	v_pk_fma_f32 v[48:49], v[42:43], s[30:31], v[46:47] op_sel:[0,0,1] op_sel_hi:[1,0,0]
	v_pk_fma_f32 v[42:43], v[42:43], s[30:31], v[46:47] op_sel:[0,0,1] op_sel_hi:[1,0,0] neg_lo:[0,0,1] neg_hi:[0,0,1]
	v_mov_b32_e32 v23, v27
	v_mov_b32_e32 v49, v43
	v_pk_add_f32 v[42:43], v[6:7], v[36:37] op_sel:[0,1] op_sel_hi:[1,0] neg_lo:[0,1] neg_hi:[0,1]
	v_pk_add_f32 v[36:37], v[6:7], v[36:37] op_sel:[0,1] op_sel_hi:[1,0]
	v_pk_fma_f32 v[22:23], v[44:45], s[30:31], v[22:23] op_sel_hi:[1,0,1]
	v_pk_add_f32 v[36:37], v[36:37], v[28:29] op_sel:[0,1] op_sel_hi:[1,0] neg_lo:[0,1] neg_hi:[0,1]
	v_pk_add_f32 v[28:29], v[42:43], v[28:29] op_sel:[0,1] op_sel_hi:[1,0]
	v_mov_b32_e32 v27, v37
	v_mov_b32_e32 v26, v28
	v_pk_fma_f32 v[46:47], v[10:11], s[30:31], v[26:27] op_sel_hi:[1,0,1]
	s_mov_b32 s22, 0xbf737871
	s_mov_b32 s23, s34
	v_pk_mul_f32 v[26:27], v[22:23], s[30:31] op_sel_hi:[1,0]
	v_mov_b32_e32 v37, v29
	v_pk_fma_f32 v[22:23], v[22:23], s[22:23], v[26:27] op_sel:[0,0,1] op_sel_hi:[1,1,0] neg_lo:[0,0,1] neg_hi:[0,0,1]
	v_pk_fma_f32 v[10:11], v[10:11], s[30:31], v[36:37] op_sel_hi:[1,0,1]
	v_pk_add_f32 v[26:27], v[46:47], v[48:49]
	v_pk_add_f32 v[28:29], v[10:11], v[22:23] op_sel:[0,1] op_sel_hi:[1,0]
	ds_write_b128 v4, v[26:29] offset:16
	v_pk_add_f32 v[26:27], v[16:17], v[20:21]
	v_pk_mul_f32 v[14:15], v[14:15], s[34:35] op_sel_hi:[1,0]
	v_pk_fma_f32 v[8:9], v[26:27], 0.5, v[8:9] op_sel_hi:[1,0,1] neg_lo:[1,0,0] neg_hi:[1,0,0]
	v_pk_add_f32 v[12:13], v[12:13], v[16:17] neg_lo:[0,1] neg_hi:[0,1]
	v_pk_add_f32 v[16:17], v[24:25], v[20:21] neg_lo:[0,1] neg_hi:[0,1]
	v_pk_add_f32 v[20:21], v[8:9], v[14:15] op_sel:[0,1] op_sel_hi:[1,0]
	v_pk_mul_f32 v[18:19], v[18:19], s[2:3] op_sel_hi:[1,0]
	v_pk_add_f32 v[8:9], v[8:9], v[14:15] op_sel:[0,1] op_sel_hi:[1,0] neg_lo:[0,1] neg_hi:[0,1]
	v_pk_add_f32 v[12:13], v[12:13], v[16:17]
	v_pk_add_f32 v[20:21], v[18:19], v[20:21] op_sel:[1,0] op_sel_hi:[0,1]
	v_pk_add_f32 v[8:9], v[8:9], v[18:19] op_sel:[0,1] op_sel_hi:[1,0] neg_lo:[0,1] neg_hi:[0,1]
	v_pk_fma_f32 v[24:25], v[12:13], s[30:31], v[20:21] op_sel_hi:[1,0,1]
	v_pk_fma_f32 v[14:15], v[12:13], s[30:31], v[8:9] op_sel_hi:[1,0,1]
	v_mov_b32_e32 v9, v21
	v_pk_fma_f32 v[8:9], v[12:13], s[30:31], v[8:9] op_sel_hi:[1,0,1]
	s_mov_b32 s22, 0xbf167918
	s_mov_b32 s23, s2
	v_pk_mul_f32 v[12:13], v[8:9], s[52:53] op_sel_hi:[1,0]
	s_mov_b32 s53, s2
	v_pk_fma_f32 v[12:13], v[8:9], s[22:23], v[12:13] op_sel:[0,0,1] op_sel_hi:[1,1,0] neg_lo:[0,0,1] neg_hi:[0,0,1]
	v_pk_mul_f32 v[8:9], v[24:25], s[52:53] op_sel_hi:[0,1]
	s_mov_b32 s3, s52
	v_mov_b32_e32 v42, v38
	v_mov_b32_e32 v43, v35
	;; [unrolled: 1-line block ×3, first 2 shown]
	v_pk_fma_f32 v[18:19], v[14:15], s[2:3], v[8:9] op_sel:[1,0,0]
	v_pk_fma_f32 v[8:9], v[14:15], s[2:3], v[8:9] op_sel:[1,0,0] neg_lo:[0,0,1] neg_hi:[0,0,1]
	v_pk_fma_f32 v[42:43], v[40:41], s[30:31], v[42:43] op_sel_hi:[1,0,1]
	v_pk_fma_f32 v[16:17], v[40:41], s[30:31], v[34:35] op_sel_hi:[1,0,1]
	v_mov_b32_e32 v19, v9
	v_pk_add_f32 v[6:7], v[30:31], v[32:33]
	v_pk_add_f32 v[8:9], v[42:43], v[18:19]
	v_pk_add_f32 v[14:15], v[16:17], v[12:13] op_sel:[1,0] op_sel_hi:[0,1]
	ds_write_b128 v4, v[6:9]
	v_pk_add_f32 v[8:9], v[30:31], v[32:33] neg_lo:[0,1] neg_hi:[0,1]
	v_mov_b32_e32 v6, v15
	v_mov_b32_e32 v7, v14
	ds_write_b128 v4, v[6:9] offset:32
	v_pk_add_f32 v[6:7], v[42:43], v[18:19] neg_lo:[0,1] neg_hi:[0,1]
	v_pk_add_f32 v[8:9], v[46:47], v[48:49] neg_lo:[0,1] neg_hi:[0,1]
	ds_write_b128 v4, v[6:9] offset:48
	v_pk_add_f32 v[6:7], v[10:11], v[22:23] op_sel:[0,1] op_sel_hi:[1,0] neg_lo:[0,1] neg_hi:[0,1]
	v_pk_add_f32 v[10:11], v[16:17], v[12:13] op_sel:[1,0] op_sel_hi:[0,1] neg_lo:[0,1] neg_hi:[0,1]
	v_mov_b32_e32 v8, v11
	v_mov_b32_e32 v9, v10
	ds_write_b128 v4, v[6:9] offset:64
	s_waitcnt lgkmcnt(0)
	; wave barrier
	s_waitcnt lgkmcnt(0)
	ds_read_b128 v[6:9], v4
	s_mov_b32 s22, s43
	ds_read_b128 v[10:13], v4 offset:16
	ds_read_b128 v[14:17], v4 offset:32
	;; [unrolled: 1-line block ×3, first 2 shown]
	v_mov_b32_e32 v26, v1
	s_waitcnt lgkmcnt(3)
	v_pk_mul_f32 v[28:29], v[8:9], s[22:23] op_sel_hi:[1,0]
	s_mov_b32 s22, s41
	v_pk_mul_f32 v[22:23], v[8:9], s[42:43] op_sel_hi:[1,0]
	v_pk_mul_f32 v[24:25], v[6:7], s[40:41] op_sel_hi:[1,0]
	;; [unrolled: 1-line block ×3, first 2 shown]
	v_sub_f32_e32 v8, v22, v29
	v_sub_f32_e32 v6, v24, v31
	v_mov_b32_e32 v31, v28
	v_mov_b32_e32 v22, v25
	v_pk_add_f32 v[22:23], v[22:23], v[30:31]
	s_mov_b32 s22, s47
	v_mov_b32_e32 v7, v22
	v_mov_b32_e32 v9, v23
	s_waitcnt lgkmcnt(2)
	v_pk_mul_f32 v[22:23], v[12:13], s[46:47] op_sel_hi:[1,0]
	v_pk_mul_f32 v[12:13], v[12:13], s[22:23] op_sel_hi:[1,0]
	s_mov_b32 s22, s45
	ds_write_b128 v4, v[6:9]
	v_pk_mul_f32 v[6:7], v[10:11], s[44:45] op_sel_hi:[1,0]
	v_pk_mul_f32 v[10:11], v[10:11], s[22:23] op_sel_hi:[1,0]
	v_sub_f32_e32 v8, v22, v13
	v_sub_f32_e32 v6, v6, v11
	v_mov_b32_e32 v11, v12
	v_mov_b32_e32 v22, v7
	v_pk_add_f32 v[10:11], v[22:23], v[10:11]
	s_mov_b32 s22, s51
	v_mov_b32_e32 v7, v10
	v_mov_b32_e32 v9, v11
	s_waitcnt lgkmcnt(2)
	v_pk_mul_f32 v[12:13], v[16:17], s[22:23] op_sel_hi:[1,0]
	s_mov_b32 s22, s49
	ds_write_b128 v4, v[6:9] offset:16
	v_pk_mul_f32 v[6:7], v[14:15], s[48:49] op_sel_hi:[1,0]
	v_pk_mul_f32 v[14:15], v[14:15], s[22:23] op_sel_hi:[1,0]
	s_load_dwordx8 s[20:27], s[20:21], 0x80
	v_pk_mul_f32 v[10:11], v[16:17], s[50:51] op_sel_hi:[1,0]
	v_sub_f32_e32 v6, v6, v15
	v_sub_f32_e32 v8, v10, v13
	v_mov_b32_e32 v15, v12
	v_mov_b32_e32 v10, v7
	v_pk_add_f32 v[10:11], v[10:11], v[14:15]
	s_waitcnt lgkmcnt(0)
	v_pk_mul_f32 v[14:15], v[20:21], s[22:23] op_sel_hi:[1,0]
	v_mov_b32_e32 v7, v10
	v_mov_b32_e32 v9, v11
	s_mov_b32 s22, s23
	ds_write_b128 v4, v[6:9] offset:32
	v_pk_mul_f32 v[6:7], v[18:19], s[20:21] op_sel_hi:[1,0]
	v_pk_mul_f32 v[10:11], v[20:21], s[22:23] op_sel_hi:[1,0]
	v_pk_mul_f32 v[16:17], v[18:19], s[20:21] op_sel:[0,1]
	v_sub_f32_e32 v8, v14, v11
	v_sub_f32_e32 v6, v6, v17
	v_mov_b32_e32 v17, v10
	ds_read_b128 v[10:13], v4 offset:64
	v_mov_b32_e32 v14, v7
	v_pk_add_f32 v[14:15], v[14:15], v[16:17]
	s_mov_b32 s20, s25
	v_mov_b32_e32 v7, v14
	v_mov_b32_e32 v9, v15
	ds_write_b128 v4, v[6:9] offset:48
	s_waitcnt lgkmcnt(1)
	v_pk_mul_f32 v[6:7], v[10:11], s[24:25] op_sel_hi:[1,0]
	v_pk_mul_f32 v[10:11], v[10:11], s[20:21] op_sel_hi:[1,0]
	s_mov_b32 s20, s27
	v_pk_mul_f32 v[14:15], v[12:13], s[26:27] op_sel_hi:[1,0]
	v_pk_mul_f32 v[12:13], v[12:13], s[20:21] op_sel_hi:[1,0]
	v_sub_f32_e32 v6, v6, v11
	v_sub_f32_e32 v8, v14, v13
	v_mov_b32_e32 v11, v12
	v_mov_b32_e32 v14, v7
	v_pk_add_f32 v[10:11], v[14:15], v[10:11]
	v_mad_u64_u32 v[30:31], s[20:21], s31, v2, v[26:27]
	v_mov_b32_e32 v7, v10
	v_mov_b32_e32 v9, v11
	ds_write_b128 v4, v[6:9] offset:64
	s_waitcnt lgkmcnt(0)
	; wave barrier
	s_waitcnt lgkmcnt(0)
	ds_read_b128 v[6:9], v4
	ds_read_b128 v[10:13], v4 offset:16
	ds_read_b128 v[14:17], v4 offset:32
	;; [unrolled: 1-line block ×4, first 2 shown]
	s_waitcnt lgkmcnt(3)
	v_pk_add_f32 v[26:27], v[6:7], v[10:11]
	s_waitcnt lgkmcnt(2)
	v_pk_add_f32 v[26:27], v[26:27], v[14:15]
	v_mov_b32_e32 v28, v12
	s_waitcnt lgkmcnt(1)
	v_pk_add_f32 v[26:27], v[26:27], v[18:19]
	s_waitcnt lgkmcnt(0)
	v_mov_b32_e32 v29, v24
	v_pk_add_f32 v[32:33], v[26:27], v[22:23]
	v_mov_b32_e32 v26, v16
	v_mov_b32_e32 v27, v20
	v_pk_add_f32 v[26:27], v[26:27], v[28:29] neg_lo:[0,1] neg_hi:[0,1]
	v_pk_add_f32 v[38:39], v[10:11], v[22:23] neg_lo:[0,1] neg_hi:[0,1]
	v_mov_b32_e32 v2, v27
	v_pk_add_f32 v[34:35], v[26:27], v[2:3]
	v_pk_add_f32 v[26:27], v[8:9], v[12:13]
	v_pk_mul_f32 v[28:29], v[38:39], s[34:35] op_sel_hi:[1,0]
	v_pk_add_f32 v[26:27], v[26:27], v[16:17]
	v_pk_add_f32 v[40:41], v[14:15], v[18:19] neg_lo:[0,1] neg_hi:[0,1]
	v_pk_add_f32 v[26:27], v[26:27], v[20:21]
	v_pk_add_f32 v[44:45], v[10:11], v[14:15] neg_lo:[0,1] neg_hi:[0,1]
	v_pk_add_f32 v[36:37], v[26:27], v[24:25]
	v_pk_add_f32 v[26:27], v[14:15], v[18:19]
	v_pk_add_f32 v[46:47], v[22:23], v[18:19] neg_lo:[0,1] neg_hi:[0,1]
	v_pk_fma_f32 v[26:27], v[26:27], 0.5, v[6:7] op_sel_hi:[1,0,1] neg_lo:[1,0,0] neg_hi:[1,0,0]
	v_pk_mul_f32 v[42:43], v[40:41], s[2:3] op_sel_hi:[1,0]
	v_pk_add_f32 v[44:45], v[44:45], v[46:47]
	v_pk_add_f32 v[46:47], v[26:27], v[28:29] op_sel:[0,1] op_sel_hi:[1,0] neg_lo:[0,1] neg_hi:[0,1]
	v_pk_add_f32 v[26:27], v[26:27], v[28:29] op_sel:[0,1] op_sel_hi:[1,0]
	v_pk_add_f32 v[50:51], v[12:13], v[24:25] neg_lo:[0,1] neg_hi:[0,1]
	v_pk_add_f32 v[48:49], v[26:27], v[42:43] op_sel:[0,1] op_sel_hi:[1,0]
	v_pk_add_f32 v[42:43], v[46:47], v[42:43] op_sel:[0,1] op_sel_hi:[1,0] neg_lo:[0,1] neg_hi:[0,1]
	v_mov_b32_e32 v27, v49
	v_mov_b32_e32 v26, v42
	v_pk_fma_f32 v[46:47], v[44:45], s[30:31], v[26:27] op_sel_hi:[1,0,1]
	v_pk_add_f32 v[26:27], v[16:17], v[20:21]
	v_pk_mul_f32 v[28:29], v[50:51], s[34:35] op_sel_hi:[1,0]
	v_pk_fma_f32 v[26:27], v[26:27], 0.5, v[8:9] op_sel_hi:[1,0,1] neg_lo:[1,0,0] neg_hi:[1,0,0]
	v_pk_add_f32 v[54:55], v[16:17], v[20:21] neg_lo:[0,1] neg_hi:[0,1]
	v_pk_add_f32 v[52:53], v[26:27], v[28:29] op_sel:[0,1] op_sel_hi:[1,0]
	v_pk_mul_f32 v[56:57], v[54:55], s[2:3] op_sel_hi:[1,0]
	v_pk_add_f32 v[58:59], v[12:13], v[16:17] neg_lo:[0,1] neg_hi:[0,1]
	v_pk_add_f32 v[60:61], v[24:25], v[20:21] neg_lo:[0,1] neg_hi:[0,1]
	v_pk_add_f32 v[26:27], v[26:27], v[28:29] op_sel:[0,1] op_sel_hi:[1,0] neg_lo:[0,1] neg_hi:[0,1]
	v_pk_add_f32 v[52:53], v[56:57], v[52:53] op_sel:[1,0] op_sel_hi:[0,1]
	v_pk_add_f32 v[58:59], v[58:59], v[60:61]
	v_pk_add_f32 v[56:57], v[26:27], v[56:57] op_sel:[0,1] op_sel_hi:[1,0] neg_lo:[0,1] neg_hi:[0,1]
	v_pk_fma_f32 v[60:61], v[58:59], s[30:31], v[52:53] op_sel_hi:[1,0,1]
	s_mov_b32 s31, s2
	v_mov_b32_e32 v52, v56
	v_pk_fma_f32 v[26:27], v[58:59], s[30:31], v[52:53] op_sel_hi:[1,0,1]
	v_mov_b32_e32 v16, v17
	v_pk_mul_f32 v[28:29], v[26:27], s[2:3] op_sel_hi:[1,0]
	v_mov_b32_e32 v17, v21
	v_pk_fma_f32 v[52:53], v[26:27], s[52:53], v[28:29] op_sel:[0,0,1] op_sel_hi:[1,0,0] neg_lo:[0,0,1] neg_hi:[0,0,1]
	v_pk_fma_f32 v[26:27], v[26:27], s[52:53], v[28:29] op_sel:[0,0,1] op_sel_hi:[1,0,0]
	v_mov_b32_e32 v20, v13
	v_mov_b32_e32 v21, v25
	;; [unrolled: 1-line block ×3, first 2 shown]
	v_pk_add_f32 v[16:17], v[16:17], v[20:21] neg_lo:[0,1] neg_hi:[0,1]
	v_pk_add_f32 v[12:13], v[12:13], v[24:25]
	v_pk_add_f32 v[26:27], v[32:33], v[36:37]
	;; [unrolled: 1-line block ×3, first 2 shown]
	v_mov_b32_e32 v2, v17
	v_fma_f32 v1, -0.5, v12, v8
	v_mov_b32_e32 v35, v51
	ds_write_b128 v4, v[26:29]
	v_pk_add_f32 v[16:17], v[16:17], v[2:3]
	v_fma_f32 v5, -0.5, v13, v9
	v_fmamk_f32 v2, v55, 0x3f737871, v1
	v_pk_mul_f32 v[8:9], v[34:35], s[30:31]
	v_fmac_f32_e32 v1, 0xbf737871, v55
	v_pk_add_f32 v[26:27], v[10:11], v[22:23]
	v_pk_add_f32 v[10:11], v[14:15], v[10:11] neg_lo:[0,1] neg_hi:[0,1]
	v_pk_add_f32 v[14:15], v[18:19], v[22:23] neg_lo:[0,1] neg_hi:[0,1]
	v_mov_b32_e32 v17, v50
	v_sub_f32_e32 v2, v2, v9
	v_add_f32_e32 v1, v9, v1
	v_pk_fma_f32 v[6:7], v[26:27], 0.5, v[6:7] op_sel_hi:[1,0,1] neg_lo:[1,0,0] neg_hi:[1,0,0]
	v_pk_add_f32 v[10:11], v[10:11], v[14:15]
	v_pk_mul_f32 v[14:15], v[40:41], s[34:35] op_sel_hi:[1,0]
	v_add_f32_e32 v2, v8, v2
	v_add_f32_e32 v8, v8, v1
	v_fmamk_f32 v1, v54, 0xbf737871, v5
	v_pk_mul_f32 v[16:17], v[16:17], s[30:31]
	v_pk_mul_f32 v[18:19], v[38:39], s[2:3] op_sel_hi:[1,0]
	v_pk_add_f32 v[22:23], v[6:7], v[14:15] op_sel:[0,1] op_sel_hi:[1,0]
	v_pk_add_f32 v[6:7], v[6:7], v[14:15] op_sel:[0,1] op_sel_hi:[1,0] neg_lo:[0,1] neg_hi:[0,1]
	v_add_f32_e32 v1, v17, v1
	v_fmac_f32_e32 v5, 0x3f737871, v54
	v_pk_add_f32 v[14:15], v[6:7], v[18:19] op_sel:[0,1] op_sel_hi:[1,0]
	v_pk_add_f32 v[18:19], v[22:23], v[18:19] op_sel:[0,1] op_sel_hi:[1,0] neg_lo:[0,1] neg_hi:[0,1]
	v_add_f32_e32 v20, v16, v1
	v_sub_f32_e32 v1, v5, v17
	v_mov_b32_e32 v6, v18
	v_mov_b32_e32 v7, v15
	s_mov_b32 s35, s30
	v_pk_fma_f32 v[12:13], v[58:59], s[30:31], v[56:57] op_sel_hi:[1,0,1]
	v_add_f32_e32 v16, v16, v1
	v_pk_fma_f32 v[22:23], v[10:11], s[30:31], v[6:7] op_sel_hi:[1,0,1]
	s_mov_b32 s31, s34
	v_pk_mul_f32 v[6:7], v[20:21], s[34:35] op_sel_hi:[0,1]
	v_mov_b32_e32 v24, s0
	v_mov_b32_e32 v25, s1
	v_pk_fma_f32 v[20:21], v[2:3], s[30:31], v[6:7] neg_lo:[0,0,1] neg_hi:[0,0,1]
	v_pk_fma_f32 v[6:7], v[2:3], s[30:31], v[6:7] op_sel_hi:[0,1,1]
	s_mov_b32 s0, 0xbe9e377a
	s_mov_b32 s1, s34
	v_pk_mul_f32 v[16:17], v[16:17], s[34:35] op_sel_hi:[0,1]
	v_mov_b32_e32 v15, v19
	v_mov_b32_e32 v21, v7
	v_pk_fma_f32 v[16:17], v[8:9], s[0:1], v[16:17] op_sel_hi:[0,1,1] neg_lo:[0,0,1] neg_hi:[0,0,1]
	v_pk_fma_f32 v[10:11], v[10:11], s[30:31], v[14:15] op_sel_hi:[1,0,1]
	v_pk_add_f32 v[6:7], v[22:23], v[20:21]
	v_pk_add_f32 v[8:9], v[10:11], v[16:17]
	ds_write_b128 v4, v[6:9] offset:16
	v_mov_b32_e32 v49, v43
	s_mov_b32 s0, 0xbf4f1bbd
	s_mov_b32 s1, s2
	v_pk_mul_f32 v[6:7], v[12:13], s[2:3] op_sel:[1,0]
	v_pk_fma_f32 v[14:15], v[44:45], s[30:31], v[48:49] op_sel_hi:[1,0,1]
	v_pk_fma_f32 v[12:13], v[60:61], s[0:1], v[6:7] op_sel_hi:[0,1,1] neg_lo:[0,0,1] neg_hi:[0,0,1]
	v_pk_add_f32 v[6:7], v[14:15], v[12:13]
	v_pk_add_f32 v[8:9], v[32:33], v[36:37] neg_lo:[0,1] neg_hi:[0,1]
	ds_write_b128 v4, v[6:9] offset:32
	v_pk_add_f32 v[6:7], v[46:47], v[52:53] neg_lo:[0,1] neg_hi:[0,1]
	v_pk_add_f32 v[8:9], v[22:23], v[20:21] neg_lo:[0,1] neg_hi:[0,1]
	ds_write_b128 v4, v[6:9] offset:48
	v_pk_add_f32 v[6:7], v[10:11], v[16:17] neg_lo:[0,1] neg_hi:[0,1]
	v_pk_add_f32 v[8:9], v[14:15], v[12:13] neg_lo:[0,1] neg_hi:[0,1]
	ds_write_b128 v4, v[6:9] offset:64
	s_waitcnt lgkmcnt(0)
	; wave barrier
	s_waitcnt lgkmcnt(0)
	ds_read_b128 v[6:9], v4
	s_mov_b32 s0, 0x9999999a
	s_mov_b32 s1, 0x3fb99999
	ds_read_b128 v[10:13], v4 offset:16
	ds_read_b128 v[14:17], v4 offset:32
	;; [unrolled: 1-line block ×3, first 2 shown]
	v_mov_b32_e32 v1, v30
	s_waitcnt lgkmcnt(3)
	v_mul_f32_e32 v2, s5, v7
	v_fmac_f32_e32 v2, s4, v6
	v_cvt_f64_f32_e32 v[22:23], v2
	v_mul_f32_e32 v2, s5, v6
	v_fma_f32 v2, s4, v7, -v2
	v_cvt_f64_f32_e32 v[6:7], v2
	v_mul_f32_e32 v2, s7, v9
	v_mul_f64 v[22:23], v[22:23], s[0:1]
	v_mul_f64 v[6:7], v[6:7], s[0:1]
	v_fmac_f32_e32 v2, s6, v8
	v_cvt_f32_f64_e32 v22, v[22:23]
	v_cvt_f32_f64_e32 v23, v[6:7]
	v_cvt_f64_f32_e32 v[6:7], v2
	v_mul_f32_e32 v2, s7, v8
	v_fma_f32 v2, s6, v9, -v2
	v_cvt_f64_f32_e32 v[8:9], v2
	v_lshl_add_u64 v[0:1], v[0:1], 3, v[24:25]
	v_mul_f64 v[6:7], v[6:7], s[0:1]
	v_mul_f64 v[8:9], v[8:9], s[0:1]
	s_waitcnt lgkmcnt(2)
	v_mul_f32_e32 v2, s9, v11
	v_cvt_f32_f64_e32 v6, v[6:7]
	v_cvt_f32_f64_e32 v7, v[8:9]
	v_lshl_add_u64 v[8:9], s[28:29], 3, v[0:1]
	v_fmac_f32_e32 v2, s8, v10
	global_store_dwordx2 v[0:1], v[22:23], off
	global_store_dwordx2 v[8:9], v[6:7], off
	v_cvt_f64_f32_e32 v[6:7], v2
	v_mul_f32_e32 v2, s9, v10
	v_fma_f32 v2, s8, v11, -v2
	v_cvt_f64_f32_e32 v[8:9], v2
	v_mul_f64 v[6:7], v[6:7], s[0:1]
	v_mul_f64 v[8:9], v[8:9], s[0:1]
	v_mul_f32_e32 v2, s11, v13
	v_cvt_f32_f64_e32 v6, v[6:7]
	v_cvt_f32_f64_e32 v7, v[8:9]
	v_lshl_add_u64 v[8:9], s[28:29], 4, v[0:1]
	v_fmac_f32_e32 v2, s10, v12
	global_store_dwordx2 v[8:9], v[6:7], off
	v_cvt_f64_f32_e32 v[6:7], v2
	v_mul_f32_e32 v2, s11, v12
	v_fma_f32 v2, s10, v13, -v2
	v_cvt_f64_f32_e32 v[8:9], v2
	v_mul_f64 v[6:7], v[6:7], s[0:1]
	v_mul_f64 v[8:9], v[8:9], s[0:1]
	v_cvt_f32_f64_e32 v6, v[6:7]
	v_cvt_f32_f64_e32 v7, v[8:9]
	v_mad_u64_u32 v[8:9], s[2:3], s28, 24, v[0:1]
	v_mov_b32_e32 v2, v9
	v_mad_u64_u32 v[10:11], s[2:3], s29, 24, v[2:3]
	s_waitcnt lgkmcnt(1)
	v_mul_f32_e32 v2, s13, v15
	v_mov_b32_e32 v9, v10
	v_fmac_f32_e32 v2, s12, v14
	global_store_dwordx2 v[8:9], v[6:7], off
	v_cvt_f64_f32_e32 v[6:7], v2
	v_mul_f32_e32 v2, s13, v14
	v_fma_f32 v2, s12, v15, -v2
	v_cvt_f64_f32_e32 v[8:9], v2
	v_mul_f64 v[6:7], v[6:7], s[0:1]
	v_mul_f64 v[8:9], v[8:9], s[0:1]
	s_lshl_b64 s[2:3], s[28:29], 5
	v_mul_f32_e32 v2, s15, v17
	v_cvt_f32_f64_e32 v6, v[6:7]
	v_cvt_f32_f64_e32 v7, v[8:9]
	v_lshl_add_u64 v[8:9], v[0:1], 0, s[2:3]
	v_fmac_f32_e32 v2, s14, v16
	global_store_dwordx2 v[8:9], v[6:7], off
	v_cvt_f64_f32_e32 v[6:7], v2
	v_mul_f32_e32 v2, s15, v16
	v_fma_f32 v2, s14, v17, -v2
	v_cvt_f64_f32_e32 v[8:9], v2
	v_mul_f64 v[6:7], v[6:7], s[0:1]
	v_mul_f64 v[8:9], v[8:9], s[0:1]
	v_cvt_f32_f64_e32 v6, v[6:7]
	v_cvt_f32_f64_e32 v7, v[8:9]
	v_mad_u64_u32 v[8:9], s[2:3], s28, 40, v[0:1]
	v_mov_b32_e32 v2, v9
	v_mad_u64_u32 v[10:11], s[2:3], s29, 40, v[2:3]
	s_waitcnt lgkmcnt(0)
	v_mul_f32_e32 v2, s17, v19
	v_mov_b32_e32 v9, v10
	v_fmac_f32_e32 v2, s16, v18
	global_store_dwordx2 v[8:9], v[6:7], off
	v_cvt_f64_f32_e32 v[6:7], v2
	v_mul_f32_e32 v2, s17, v18
	v_fma_f32 v2, s16, v19, -v2
	v_cvt_f64_f32_e32 v[8:9], v2
	v_mul_f64 v[6:7], v[6:7], s[0:1]
	v_mul_f64 v[8:9], v[8:9], s[0:1]
	v_cvt_f32_f64_e32 v6, v[6:7]
	v_cvt_f32_f64_e32 v7, v[8:9]
	v_mad_u64_u32 v[8:9], s[2:3], s28, 48, v[0:1]
	v_mov_b32_e32 v2, v9
	v_mad_u64_u32 v[10:11], s[2:3], s29, 48, v[2:3]
	v_mul_f32_e32 v2, s19, v21
	v_mov_b32_e32 v9, v10
	v_fmac_f32_e32 v2, s18, v20
	global_store_dwordx2 v[8:9], v[6:7], off
	v_cvt_f64_f32_e32 v[6:7], v2
	v_mul_f32_e32 v2, s19, v20
	v_mul_f64 v[6:7], v[6:7], s[0:1]
	v_fma_f32 v2, s18, v21, -v2
	v_cvt_f32_f64_e32 v8, v[6:7]
	v_cvt_f64_f32_e32 v[6:7], v2
	v_mul_f64 v[6:7], v[6:7], s[0:1]
	v_cvt_f32_f64_e32 v9, v[6:7]
	ds_read_b128 v[4:7], v4 offset:64
	v_mad_u64_u32 v[10:11], s[2:3], s28, 56, v[0:1]
	v_mov_b32_e32 v2, v11
	v_mad_u64_u32 v[12:13], s[2:3], s29, 56, v[2:3]
	s_waitcnt lgkmcnt(0)
	v_mul_f32_e32 v2, s37, v5
	v_mov_b32_e32 v11, v12
	v_fmac_f32_e32 v2, s36, v4
	global_store_dwordx2 v[10:11], v[8:9], off
	v_cvt_f64_f32_e32 v[8:9], v2
	v_mul_f32_e32 v2, s37, v4
	v_fma_f32 v2, s36, v5, -v2
	v_cvt_f64_f32_e32 v[4:5], v2
	v_mul_f64 v[8:9], v[8:9], s[0:1]
	v_mul_f64 v[4:5], v[4:5], s[0:1]
	s_lshl_b64 s[2:3], s[28:29], 6
	v_mul_f32_e32 v2, s39, v7
	v_cvt_f32_f64_e32 v8, v[8:9]
	v_cvt_f32_f64_e32 v9, v[4:5]
	v_lshl_add_u64 v[4:5], v[0:1], 0, s[2:3]
	v_fmac_f32_e32 v2, s38, v6
	global_store_dwordx2 v[4:5], v[8:9], off
	v_cvt_f64_f32_e32 v[4:5], v2
	v_mul_f32_e32 v2, s39, v6
	v_fma_f32 v2, s38, v7, -v2
	v_cvt_f64_f32_e32 v[6:7], v2
	v_mul_f64 v[4:5], v[4:5], s[0:1]
	v_mul_f64 v[6:7], v[6:7], s[0:1]
	v_mad_u64_u32 v[0:1], s[0:1], s28, v3, v[0:1]
	s_mul_i32 s0, s29, 0x48
	v_cvt_f32_f64_e32 v4, v[4:5]
	v_cvt_f32_f64_e32 v5, v[6:7]
	v_add_u32_e32 v1, s0, v1
	global_store_dwordx2 v[0:1], v[4:5], off
.LBB0_2:
	s_endpgm
	.section	.rodata,"a",@progbits
	.p2align	6, 0x0
	.amdhsa_kernel bluestein_single_back_len10_dim1_sp_op_CI_CI
		.amdhsa_group_segment_fixed_size 5120
		.amdhsa_private_segment_fixed_size 0
		.amdhsa_kernarg_size 104
		.amdhsa_user_sgpr_count 2
		.amdhsa_user_sgpr_dispatch_ptr 0
		.amdhsa_user_sgpr_queue_ptr 0
		.amdhsa_user_sgpr_kernarg_segment_ptr 1
		.amdhsa_user_sgpr_dispatch_id 0
		.amdhsa_user_sgpr_kernarg_preload_length 0
		.amdhsa_user_sgpr_kernarg_preload_offset 0
		.amdhsa_user_sgpr_private_segment_size 0
		.amdhsa_uses_dynamic_stack 0
		.amdhsa_enable_private_segment 0
		.amdhsa_system_sgpr_workgroup_id_x 1
		.amdhsa_system_sgpr_workgroup_id_y 0
		.amdhsa_system_sgpr_workgroup_id_z 0
		.amdhsa_system_sgpr_workgroup_info 0
		.amdhsa_system_vgpr_workitem_id 0
		.amdhsa_next_free_vgpr 62
		.amdhsa_next_free_sgpr 54
		.amdhsa_accum_offset 64
		.amdhsa_reserve_vcc 1
		.amdhsa_float_round_mode_32 0
		.amdhsa_float_round_mode_16_64 0
		.amdhsa_float_denorm_mode_32 3
		.amdhsa_float_denorm_mode_16_64 3
		.amdhsa_dx10_clamp 1
		.amdhsa_ieee_mode 1
		.amdhsa_fp16_overflow 0
		.amdhsa_tg_split 0
		.amdhsa_exception_fp_ieee_invalid_op 0
		.amdhsa_exception_fp_denorm_src 0
		.amdhsa_exception_fp_ieee_div_zero 0
		.amdhsa_exception_fp_ieee_overflow 0
		.amdhsa_exception_fp_ieee_underflow 0
		.amdhsa_exception_fp_ieee_inexact 0
		.amdhsa_exception_int_div_zero 0
	.end_amdhsa_kernel
	.text
.Lfunc_end0:
	.size	bluestein_single_back_len10_dim1_sp_op_CI_CI, .Lfunc_end0-bluestein_single_back_len10_dim1_sp_op_CI_CI
                                        ; -- End function
	.section	.AMDGPU.csdata,"",@progbits
; Kernel info:
; codeLenInByte = 4052
; NumSgprs: 60
; NumVgprs: 62
; NumAgprs: 0
; TotalNumVgprs: 62
; ScratchSize: 0
; MemoryBound: 0
; FloatMode: 240
; IeeeMode: 1
; LDSByteSize: 5120 bytes/workgroup (compile time only)
; SGPRBlocks: 7
; VGPRBlocks: 7
; NumSGPRsForWavesPerEU: 60
; NumVGPRsForWavesPerEU: 62
; AccumOffset: 64
; Occupancy: 8
; WaveLimiterHint : 1
; COMPUTE_PGM_RSRC2:SCRATCH_EN: 0
; COMPUTE_PGM_RSRC2:USER_SGPR: 2
; COMPUTE_PGM_RSRC2:TRAP_HANDLER: 0
; COMPUTE_PGM_RSRC2:TGID_X_EN: 1
; COMPUTE_PGM_RSRC2:TGID_Y_EN: 0
; COMPUTE_PGM_RSRC2:TGID_Z_EN: 0
; COMPUTE_PGM_RSRC2:TIDIG_COMP_CNT: 0
; COMPUTE_PGM_RSRC3_GFX90A:ACCUM_OFFSET: 15
; COMPUTE_PGM_RSRC3_GFX90A:TG_SPLIT: 0
	.text
	.p2alignl 6, 3212836864
	.fill 256, 4, 3212836864
	.type	__hip_cuid_86d621227f9a4d08,@object ; @__hip_cuid_86d621227f9a4d08
	.section	.bss,"aw",@nobits
	.globl	__hip_cuid_86d621227f9a4d08
__hip_cuid_86d621227f9a4d08:
	.byte	0                               ; 0x0
	.size	__hip_cuid_86d621227f9a4d08, 1

	.ident	"AMD clang version 19.0.0git (https://github.com/RadeonOpenCompute/llvm-project roc-6.4.0 25133 c7fe45cf4b819c5991fe208aaa96edf142730f1d)"
	.section	".note.GNU-stack","",@progbits
	.addrsig
	.addrsig_sym __hip_cuid_86d621227f9a4d08
	.amdgpu_metadata
---
amdhsa.kernels:
  - .agpr_count:     0
    .args:
      - .actual_access:  read_only
        .address_space:  global
        .offset:         0
        .size:           8
        .value_kind:     global_buffer
      - .actual_access:  read_only
        .address_space:  global
        .offset:         8
        .size:           8
        .value_kind:     global_buffer
      - .actual_access:  read_only
        .address_space:  global
        .offset:         16
        .size:           8
        .value_kind:     global_buffer
      - .actual_access:  read_only
        .address_space:  global
        .offset:         24
        .size:           8
        .value_kind:     global_buffer
      - .actual_access:  read_only
        .address_space:  global
        .offset:         32
        .size:           8
        .value_kind:     global_buffer
      - .offset:         40
        .size:           8
        .value_kind:     by_value
      - .address_space:  global
        .offset:         48
        .size:           8
        .value_kind:     global_buffer
      - .address_space:  global
        .offset:         56
        .size:           8
        .value_kind:     global_buffer
      - .address_space:  global
        .offset:         64
        .size:           8
        .value_kind:     global_buffer
      - .address_space:  global
        .offset:         72
        .size:           8
        .value_kind:     global_buffer
      - .offset:         80
        .size:           4
        .value_kind:     by_value
      - .address_space:  global
        .offset:         88
        .size:           8
        .value_kind:     global_buffer
      - .address_space:  global
        .offset:         96
        .size:           8
        .value_kind:     global_buffer
    .group_segment_fixed_size: 5120
    .kernarg_segment_align: 8
    .kernarg_segment_size: 104
    .language:       OpenCL C
    .language_version:
      - 2
      - 0
    .max_flat_workgroup_size: 64
    .name:           bluestein_single_back_len10_dim1_sp_op_CI_CI
    .private_segment_fixed_size: 0
    .sgpr_count:     60
    .sgpr_spill_count: 0
    .symbol:         bluestein_single_back_len10_dim1_sp_op_CI_CI.kd
    .uniform_work_group_size: 1
    .uses_dynamic_stack: false
    .vgpr_count:     62
    .vgpr_spill_count: 0
    .wavefront_size: 64
amdhsa.target:   amdgcn-amd-amdhsa--gfx950
amdhsa.version:
  - 1
  - 2
...

	.end_amdgpu_metadata
